;; amdgpu-corpus repo=ROCm/rocFFT kind=compiled arch=gfx906 opt=O3
	.text
	.amdgcn_target "amdgcn-amd-amdhsa--gfx906"
	.amdhsa_code_object_version 6
	.protected	bluestein_single_back_len20_dim1_sp_op_CI_CI ; -- Begin function bluestein_single_back_len20_dim1_sp_op_CI_CI
	.globl	bluestein_single_back_len20_dim1_sp_op_CI_CI
	.p2align	8
	.type	bluestein_single_back_len20_dim1_sp_op_CI_CI,@function
bluestein_single_back_len20_dim1_sp_op_CI_CI: ; @bluestein_single_back_len20_dim1_sp_op_CI_CI
; %bb.0:
	v_mul_u32_u24_e32 v1, 0x199a, v0
	s_load_dwordx4 s[0:3], s[4:5], 0x28
	v_lshrrev_b32_e32 v1, 16, v1
	v_mad_u64_u32 v[20:21], s[6:7], s6, 25, v[1:2]
	v_mov_b32_e32 v21, 0
	s_waitcnt lgkmcnt(0)
	v_cmp_gt_u64_e32 vcc, s[0:1], v[20:21]
	s_and_saveexec_b64 s[0:1], vcc
	s_cbranch_execz .LBB0_23
; %bb.1:
	s_mov_b32 s0, 0x51eb851f
	v_mul_hi_u32 v2, v20, s0
	s_load_dwordx2 s[12:13], s[4:5], 0x0
	s_load_dwordx2 s[6:7], s[4:5], 0x38
	v_mul_lo_u16_e32 v1, 10, v1
	v_sub_u16_e32 v25, v0, v1
	v_lshrrev_b32_e32 v2, 3, v2
	v_mul_lo_u32 v2, v2, 25
	v_cmp_gt_u16_e32 vcc, 4, v25
	v_lshlrev_b32_e32 v28, 3, v25
	v_or_b32_e32 v26, 4, v25
	v_sub_u32_e32 v0, v20, v2
	v_mul_u32_u24_e32 v29, 20, v0
	v_or_b32_e32 v0, v29, v25
	v_lshlrev_b32_e32 v30, 3, v0
	v_or_b32_e32 v27, 8, v25
	v_or_b32_e32 v24, 12, v25
	;; [unrolled: 1-line block ×3, first 2 shown]
	s_and_saveexec_b64 s[14:15], vcc
	s_cbranch_execz .LBB0_3
; %bb.2:
	s_load_dwordx2 s[0:1], s[4:5], 0x18
	v_mov_b32_e32 v8, s3
	s_waitcnt lgkmcnt(0)
	s_load_dwordx4 s[8:11], s[0:1], 0x0
	s_waitcnt lgkmcnt(0)
	v_mad_u64_u32 v[0:1], s[0:1], s10, v20, 0
	v_mad_u64_u32 v[2:3], s[0:1], s8, v25, 0
	;; [unrolled: 1-line block ×5, first 2 shown]
	v_mov_b32_e32 v1, v4
	v_lshlrev_b64 v[0:1], 3, v[0:1]
	v_mov_b32_e32 v3, v5
	v_add_co_u32_e64 v21, s[0:1], s2, v0
	v_mov_b32_e32 v0, v7
	v_addc_co_u32_e64 v22, s[0:1], v8, v1, s[0:1]
	v_mad_u64_u32 v[0:1], s[0:1], s9, v26, v[0:1]
	v_mad_u64_u32 v[4:5], s[0:1], s8, v27, 0
	v_lshlrev_b64 v[2:3], 3, v[2:3]
	v_mov_b32_e32 v7, v0
	v_add_co_u32_e64 v1, s[0:1], v21, v2
	v_mov_b32_e32 v0, v5
	v_addc_co_u32_e64 v2, s[0:1], v22, v3, s[0:1]
	v_mad_u64_u32 v[8:9], s[0:1], s9, v27, v[0:1]
	v_mad_u64_u32 v[9:10], s[0:1], s8, v24, 0
	v_lshlrev_b64 v[6:7], 3, v[6:7]
	v_mov_b32_e32 v5, v8
	v_add_co_u32_e64 v6, s[0:1], v21, v6
	v_mov_b32_e32 v0, v10
	v_addc_co_u32_e64 v7, s[0:1], v22, v7, s[0:1]
	v_mad_u64_u32 v[10:11], s[0:1], s9, v24, v[0:1]
	v_lshlrev_b64 v[3:4], 3, v[4:5]
	v_add_co_u32_e64 v3, s[0:1], v21, v3
	v_lshlrev_b64 v[8:9], 3, v[9:10]
	v_addc_co_u32_e64 v4, s[0:1], v22, v4, s[0:1]
	v_add_co_u32_e64 v8, s[0:1], v21, v8
	v_addc_co_u32_e64 v9, s[0:1], v22, v9, s[0:1]
	v_mad_u64_u32 v[10:11], s[0:1], s8, v23, 0
	global_load_dwordx2 v[12:13], v[1:2], off
	global_load_dwordx2 v[14:15], v[6:7], off
	;; [unrolled: 1-line block ×4, first 2 shown]
	v_mov_b32_e32 v0, v11
	v_mad_u64_u32 v[0:1], s[0:1], s9, v23, v[0:1]
	global_load_dwordx2 v[1:2], v28, s[12:13]
	global_load_dwordx2 v[3:4], v28, s[12:13] offset:32
	global_load_dwordx2 v[5:6], v28, s[12:13] offset:64
	;; [unrolled: 1-line block ×3, first 2 shown]
	v_mov_b32_e32 v11, v0
	v_lshlrev_b64 v[9:10], 3, v[10:11]
	v_lshl_add_u32 v11, v29, 3, v28
	v_add_co_u32_e64 v9, s[0:1], v21, v9
	v_addc_co_u32_e64 v10, s[0:1], v22, v10, s[0:1]
	global_load_dwordx2 v[21:22], v28, s[12:13] offset:128
	global_load_dwordx2 v[31:32], v[9:10], off
	s_waitcnt vmcnt(5)
	v_mul_f32_e32 v10, v12, v2
	v_mul_f32_e32 v9, v13, v2
	s_waitcnt vmcnt(4)
	v_mul_f32_e32 v33, v14, v4
	v_mul_f32_e32 v0, v15, v4
	;; [unrolled: 3-line block ×4, first 2 shown]
	v_fma_f32 v10, v13, v1, -v10
	v_fmac_f32_e32 v9, v12, v1
	v_fma_f32 v1, v15, v3, -v33
	v_fmac_f32_e32 v0, v14, v3
	s_waitcnt vmcnt(0)
	v_mul_f32_e32 v8, v31, v22
	v_mul_f32_e32 v6, v32, v22
	v_fma_f32 v3, v17, v5, -v34
	v_fmac_f32_e32 v2, v16, v5
	v_fma_f32 v5, v19, v7, -v35
	v_fmac_f32_e32 v4, v18, v7
	v_fma_f32 v7, v32, v21, -v8
	v_fmac_f32_e32 v6, v31, v21
	ds_write_b64 v30, v[9:10]
	ds_write2_b64 v11, v[0:1], v[2:3] offset0:4 offset1:8
	ds_write2_b64 v11, v[4:5], v[6:7] offset0:12 offset1:16
.LBB0_3:
	s_or_b64 exec, exec, s[14:15]
	v_lshlrev_b32_e32 v31, 3, v29
	s_waitcnt lgkmcnt(0)
	s_barrier
	s_waitcnt lgkmcnt(0)
                                        ; implicit-def: $vgpr16
                                        ; implicit-def: $vgpr6
                                        ; implicit-def: $vgpr10
	s_and_saveexec_b64 s[0:1], vcc
	s_cbranch_execz .LBB0_5
; %bb.4:
	v_lshl_add_u32 v0, v25, 3, v31
	ds_read_b64 v[10:11], v30
	ds_read2_b64 v[4:7], v0 offset0:4 offset1:8
	ds_read2_b64 v[16:19], v0 offset0:12 offset1:16
.LBB0_5:
	s_or_b64 exec, exec, s[0:1]
	s_waitcnt lgkmcnt(1)
	v_add_f32_e32 v0, v4, v10
	v_add_f32_e32 v0, v6, v0
	s_waitcnt lgkmcnt(0)
	v_add_f32_e32 v0, v16, v0
	v_add_f32_e32 v12, v18, v0
	;; [unrolled: 1-line block ×3, first 2 shown]
	v_fma_f32 v2, -0.5, v0, v10
	v_sub_f32_e32 v0, v5, v19
	v_mov_b32_e32 v14, v2
	v_fmac_f32_e32 v14, 0x3f737871, v0
	v_sub_f32_e32 v1, v7, v17
	v_sub_f32_e32 v3, v4, v6
	;; [unrolled: 1-line block ×3, first 2 shown]
	v_fmac_f32_e32 v2, 0xbf737871, v0
	v_fmac_f32_e32 v14, 0x3f167918, v1
	v_add_f32_e32 v3, v8, v3
	v_fmac_f32_e32 v2, 0xbf167918, v1
	v_fmac_f32_e32 v14, 0x3e9e377a, v3
	v_fmac_f32_e32 v2, 0x3e9e377a, v3
	v_add_f32_e32 v3, v18, v4
	v_fmac_f32_e32 v10, -0.5, v3
	v_mov_b32_e32 v8, v10
	v_fmac_f32_e32 v8, 0xbf737871, v1
	v_fmac_f32_e32 v10, 0x3f737871, v1
	;; [unrolled: 1-line block ×4, first 2 shown]
	v_add_f32_e32 v0, v5, v11
	v_add_f32_e32 v0, v7, v0
	v_sub_f32_e32 v3, v6, v4
	v_sub_f32_e32 v9, v16, v18
	v_add_f32_e32 v0, v17, v0
	v_add_f32_e32 v3, v9, v3
	;; [unrolled: 1-line block ×4, first 2 shown]
	v_fmac_f32_e32 v8, 0x3e9e377a, v3
	v_fmac_f32_e32 v10, 0x3e9e377a, v3
	v_fma_f32 v3, -0.5, v0, v11
	v_sub_f32_e32 v0, v4, v18
	v_mov_b32_e32 v15, v3
	v_fmac_f32_e32 v15, 0xbf737871, v0
	v_sub_f32_e32 v1, v6, v16
	v_sub_f32_e32 v4, v5, v7
	;; [unrolled: 1-line block ×3, first 2 shown]
	v_fmac_f32_e32 v3, 0x3f737871, v0
	v_fmac_f32_e32 v15, 0xbf167918, v1
	v_add_f32_e32 v4, v6, v4
	v_fmac_f32_e32 v3, 0x3f167918, v1
	v_fmac_f32_e32 v15, 0x3e9e377a, v4
	;; [unrolled: 1-line block ×3, first 2 shown]
	v_add_f32_e32 v4, v19, v5
	s_load_dwordx2 s[2:3], s[4:5], 0x8
	v_fmac_f32_e32 v11, -0.5, v4
	v_mov_b32_e32 v9, v11
	v_fmac_f32_e32 v9, 0x3f737871, v1
	v_sub_f32_e32 v4, v7, v5
	v_sub_f32_e32 v5, v17, v19
	v_fmac_f32_e32 v11, 0xbf737871, v1
	v_fmac_f32_e32 v9, 0xbf167918, v0
	v_add_f32_e32 v4, v5, v4
	v_fmac_f32_e32 v11, 0x3f167918, v0
	v_fmac_f32_e32 v9, 0x3e9e377a, v4
	;; [unrolled: 1-line block ×3, first 2 shown]
	v_mul_lo_u16_e32 v33, 5, v25
	s_waitcnt lgkmcnt(0)
	s_barrier
	s_and_saveexec_b64 s[0:1], vcc
	s_cbranch_execz .LBB0_7
; %bb.6:
	v_add_lshl_u32 v0, v29, v33, 3
	ds_write2_b64 v0, v[12:13], v[14:15] offset1:1
	ds_write2_b64 v0, v[8:9], v[10:11] offset0:2 offset1:3
	ds_write_b64 v0, v[2:3] offset:32
.LBB0_7:
	s_or_b64 exec, exec, s[0:1]
	v_cmp_gt_u16_e64 s[0:1], 5, v25
	v_add_lshl_u32 v32, v29, v25, 3
	s_waitcnt lgkmcnt(0)
	s_barrier
	s_and_saveexec_b64 s[8:9], s[0:1]
	s_cbranch_execz .LBB0_9
; %bb.8:
	ds_read2_b64 v[12:15], v32 offset1:5
	ds_read2_b64 v[8:11], v32 offset0:10 offset1:15
.LBB0_9:
	s_or_b64 exec, exec, s[8:9]
	v_add_u32_e32 v0, -5, v25
	v_cndmask_b32_e64 v0, v0, v25, s[0:1]
	v_mul_hi_i32_i24_e32 v1, 24, v0
	v_mul_i32_i24_e32 v0, 24, v0
	v_mov_b32_e32 v4, s3
	v_add_co_u32_e64 v0, s[2:3], s2, v0
	v_addc_co_u32_e64 v1, s[2:3], v4, v1, s[2:3]
	global_load_dwordx4 v[4:7], v[0:1], off
	global_load_dwordx2 v[21:22], v[0:1], off offset:16
	s_waitcnt vmcnt(1) lgkmcnt(1)
	v_mul_f32_e32 v0, v15, v5
	v_mul_f32_e32 v1, v14, v5
	s_waitcnt lgkmcnt(0)
	v_mul_f32_e32 v16, v9, v7
	v_mul_f32_e32 v17, v8, v7
	s_waitcnt vmcnt(0)
	v_mul_f32_e32 v18, v11, v22
	v_mul_f32_e32 v19, v10, v22
	v_fma_f32 v0, v14, v4, -v0
	v_fmac_f32_e32 v1, v15, v4
	v_fma_f32 v8, v8, v6, -v16
	v_fmac_f32_e32 v17, v9, v6
	;; [unrolled: 2-line block ×3, first 2 shown]
	v_sub_f32_e32 v8, v12, v8
	v_sub_f32_e32 v16, v13, v17
	;; [unrolled: 1-line block ×4, first 2 shown]
	v_fma_f32 v11, v12, 2.0, -v8
	v_fma_f32 v13, v13, 2.0, -v16
	;; [unrolled: 1-line block ×4, first 2 shown]
	v_sub_f32_e32 v0, v8, v10
	v_add_f32_e32 v1, v16, v9
	v_sub_f32_e32 v14, v11, v12
	v_sub_f32_e32 v15, v13, v15
	v_fma_f32 v12, v8, 2.0, -v0
	v_fma_f32 v10, v11, 2.0, -v14
	;; [unrolled: 1-line block ×4, first 2 shown]
	s_and_saveexec_b64 s[2:3], s[0:1]
	s_cbranch_execz .LBB0_11
; %bb.10:
	v_lshl_add_u32 v8, v29, 3, v28
	ds_write2_b64 v8, v[10:11], v[12:13] offset1:5
	ds_write2_b64 v8, v[14:15], v[0:1] offset0:10 offset1:15
.LBB0_11:
	s_or_b64 exec, exec, s[2:3]
	s_waitcnt lgkmcnt(0)
	s_barrier
	s_and_saveexec_b64 s[2:3], vcc
	s_cbranch_execz .LBB0_13
; %bb.12:
	global_load_dwordx2 v[8:9], v28, s[12:13] offset:160
	s_add_u32 s8, s12, 0xa0
	s_addc_u32 s9, s13, 0
	global_load_dwordx2 v[38:39], v28, s[8:9] offset:32
	global_load_dwordx2 v[40:41], v28, s[8:9] offset:64
	;; [unrolled: 1-line block ×4, first 2 shown]
	ds_read_b64 v[16:17], v30
	v_lshl_add_u32 v46, v29, 3, v28
	s_waitcnt vmcnt(4) lgkmcnt(0)
	v_mul_f32_e32 v18, v17, v9
	v_mul_f32_e32 v19, v16, v9
	v_fma_f32 v18, v16, v8, -v18
	v_fmac_f32_e32 v19, v17, v8
	ds_write_b64 v30, v[18:19]
	ds_read2_b64 v[16:19], v46 offset0:4 offset1:8
	ds_read2_b64 v[34:37], v46 offset0:12 offset1:16
	s_waitcnt vmcnt(3) lgkmcnt(1)
	v_mul_f32_e32 v8, v17, v39
	v_mul_f32_e32 v9, v16, v39
	s_waitcnt vmcnt(2)
	v_mul_f32_e32 v47, v19, v41
	v_mul_f32_e32 v39, v18, v41
	s_waitcnt vmcnt(1) lgkmcnt(0)
	v_mul_f32_e32 v48, v35, v43
	v_mul_f32_e32 v41, v34, v43
	s_waitcnt vmcnt(0)
	v_mul_f32_e32 v49, v37, v45
	v_mul_f32_e32 v43, v36, v45
	v_fma_f32 v8, v16, v38, -v8
	v_fmac_f32_e32 v9, v17, v38
	v_fma_f32 v38, v18, v40, -v47
	v_fmac_f32_e32 v39, v19, v40
	;; [unrolled: 2-line block ×4, first 2 shown]
	ds_write2_b64 v46, v[8:9], v[38:39] offset0:4 offset1:8
	ds_write2_b64 v46, v[40:41], v[42:43] offset0:12 offset1:16
.LBB0_13:
	s_or_b64 exec, exec, s[2:3]
	s_waitcnt lgkmcnt(0)
	s_barrier
	s_and_saveexec_b64 s[2:3], vcc
	s_cbranch_execz .LBB0_15
; %bb.14:
	v_lshl_add_u32 v0, v25, 3, v31
	ds_read_b64 v[10:11], v30
	ds_read2_b64 v[12:15], v0 offset0:4 offset1:8
	ds_read2_b64 v[0:3], v0 offset0:12 offset1:16
.LBB0_15:
	s_or_b64 exec, exec, s[2:3]
	s_waitcnt lgkmcnt(1)
	v_add_f32_e32 v8, v12, v10
	v_add_f32_e32 v8, v14, v8
	s_waitcnt lgkmcnt(0)
	v_add_f32_e32 v8, v0, v8
	v_add_f32_e32 v16, v2, v8
	;; [unrolled: 1-line block ×3, first 2 shown]
	v_fma_f32 v31, -0.5, v8, v10
	v_sub_f32_e32 v8, v12, v14
	v_sub_f32_e32 v9, v2, v0
	v_add_f32_e32 v36, v9, v8
	v_add_f32_e32 v8, v2, v12
	v_fmac_f32_e32 v10, -0.5, v8
	v_sub_f32_e32 v35, v15, v1
	v_mov_b32_e32 v8, v10
	v_sub_f32_e32 v34, v13, v3
	v_fmac_f32_e32 v8, 0x3f737871, v35
	v_sub_f32_e32 v9, v14, v12
	v_sub_f32_e32 v17, v0, v2
	v_fmac_f32_e32 v10, 0xbf737871, v35
	v_fmac_f32_e32 v8, 0xbf167918, v34
	v_add_f32_e32 v9, v17, v9
	v_fmac_f32_e32 v10, 0x3f167918, v34
	v_fmac_f32_e32 v8, 0x3e9e377a, v9
	;; [unrolled: 1-line block ×3, first 2 shown]
	v_add_f32_e32 v9, v13, v11
	v_add_f32_e32 v9, v15, v9
	;; [unrolled: 1-line block ×5, first 2 shown]
	v_fma_f32 v37, -0.5, v9, v11
	v_sub_f32_e32 v2, v12, v2
	v_sub_f32_e32 v9, v13, v15
	v_sub_f32_e32 v12, v3, v1
	v_add_f32_e32 v12, v12, v9
	v_add_f32_e32 v9, v3, v13
	v_fmac_f32_e32 v11, -0.5, v9
	v_mov_b32_e32 v18, v31
	v_mov_b32_e32 v19, v37
	v_sub_f32_e32 v0, v14, v0
	v_mov_b32_e32 v9, v11
	v_fmac_f32_e32 v18, 0xbf737871, v34
	v_fmac_f32_e32 v19, 0x3f737871, v2
	;; [unrolled: 1-line block ×3, first 2 shown]
	v_sub_f32_e32 v13, v15, v13
	v_sub_f32_e32 v1, v1, v3
	v_fmac_f32_e32 v11, 0x3f737871, v0
	v_fmac_f32_e32 v18, 0xbf167918, v35
	;; [unrolled: 1-line block ×4, first 2 shown]
	v_add_f32_e32 v1, v1, v13
	v_fmac_f32_e32 v11, 0xbf167918, v2
	v_fmac_f32_e32 v18, 0x3e9e377a, v36
	;; [unrolled: 1-line block ×5, first 2 shown]
	s_barrier
	s_and_saveexec_b64 s[2:3], vcc
	s_cbranch_execz .LBB0_17
; %bb.16:
	v_mul_f32_e32 v1, 0x3f737871, v2
	v_mul_f32_e32 v0, 0x3f167918, v0
	v_sub_f32_e32 v1, v37, v1
	v_mul_f32_e32 v3, 0x3f737871, v34
	v_mul_f32_e32 v2, 0x3e9e377a, v12
	v_sub_f32_e32 v0, v1, v0
	v_mul_f32_e32 v13, 0x3f167918, v35
	v_add_f32_e32 v1, v2, v0
	v_add_f32_e32 v0, v31, v3
	v_mul_f32_e32 v14, 0x3e9e377a, v36
	v_add_f32_e32 v0, v13, v0
	v_add_lshl_u32 v2, v29, v33, 3
	v_add_f32_e32 v0, v14, v0
	ds_write2_b64 v2, v[16:17], v[18:19] offset1:1
	ds_write2_b64 v2, v[8:9], v[10:11] offset0:2 offset1:3
	ds_write_b64 v2, v[0:1] offset:32
.LBB0_17:
	s_or_b64 exec, exec, s[2:3]
	s_waitcnt lgkmcnt(0)
	s_barrier
	s_and_saveexec_b64 s[2:3], s[0:1]
	s_cbranch_execz .LBB0_19
; %bb.18:
	ds_read2_b64 v[16:19], v32 offset1:5
	ds_read2_b64 v[8:11], v32 offset0:10 offset1:15
.LBB0_19:
	s_or_b64 exec, exec, s[2:3]
	s_and_saveexec_b64 s[2:3], s[0:1]
	s_cbranch_execz .LBB0_21
; %bb.20:
	s_waitcnt lgkmcnt(0)
	v_mul_f32_e32 v0, v7, v8
	v_fma_f32 v0, v6, v9, -v0
	v_sub_f32_e32 v12, v17, v0
	v_mul_f32_e32 v13, v5, v19
	v_mul_f32_e32 v0, v22, v11
	v_fmac_f32_e32 v13, v4, v18
	v_fmac_f32_e32 v0, v21, v10
	v_sub_f32_e32 v14, v13, v0
	v_mul_f32_e32 v0, v7, v9
	v_fmac_f32_e32 v0, v6, v8
	v_sub_f32_e32 v6, v16, v0
	v_mul_f32_e32 v0, v5, v18
	v_fma_f32 v4, v4, v19, -v0
	v_mul_f32_e32 v0, v22, v10
	v_fma_f32 v0, v21, v11, -v0
	v_sub_f32_e32 v5, v4, v0
	v_add_f32_e32 v0, v6, v5
	v_fma_f32 v7, v17, 2.0, -v12
	v_fma_f32 v4, v4, 2.0, -v5
	;; [unrolled: 1-line block ×3, first 2 shown]
	v_sub_f32_e32 v5, v7, v4
	v_fma_f32 v6, v16, 2.0, -v6
	v_fma_f32 v4, v13, 2.0, -v14
	v_sub_f32_e32 v1, v12, v14
	v_sub_f32_e32 v4, v6, v4
	v_fma_f32 v3, v12, 2.0, -v1
	v_fma_f32 v7, v7, 2.0, -v5
	;; [unrolled: 1-line block ×3, first 2 shown]
	v_lshl_add_u32 v8, v29, 3, v28
	ds_write2_b64 v8, v[6:7], v[2:3] offset1:5
	ds_write2_b64 v8, v[4:5], v[0:1] offset0:10 offset1:15
.LBB0_21:
	s_or_b64 exec, exec, s[2:3]
	s_waitcnt lgkmcnt(0)
	s_barrier
	s_and_b64 exec, exec, vcc
	s_cbranch_execz .LBB0_23
; %bb.22:
	global_load_dwordx2 v[8:9], v28, s[12:13]
	global_load_dwordx2 v[10:11], v28, s[12:13] offset:32
	global_load_dwordx2 v[12:13], v28, s[12:13] offset:64
	;; [unrolled: 1-line block ×4, first 2 shown]
	s_load_dwordx2 s[0:1], s[4:5], 0x20
	ds_read_b64 v[16:17], v30
	v_lshl_add_u32 v4, v29, 3, v28
	v_mov_b32_e32 v37, s7
	s_mov_b32 s4, 0x9999999a
	s_waitcnt lgkmcnt(0)
	s_load_dwordx4 s[0:3], s[0:1], 0x0
	ds_read2_b64 v[0:3], v4 offset0:4 offset1:8
	ds_read2_b64 v[4:7], v4 offset0:12 offset1:16
	s_mov_b32 s5, 0x3fa99999
	s_waitcnt lgkmcnt(0)
	v_mad_u64_u32 v[21:22], s[8:9], s2, v20, 0
	v_mad_u64_u32 v[28:29], s[8:9], s0, v25, 0
	;; [unrolled: 1-line block ×8, first 2 shown]
	v_mov_b32_e32 v22, v34
	v_lshlrev_b64 v[20:21], 3, v[21:22]
	v_mov_b32_e32 v29, v35
	v_mov_b32_e32 v31, v25
	;; [unrolled: 1-line block ×3, first 2 shown]
	v_lshlrev_b64 v[25:26], 3, v[28:29]
	v_add_co_u32_e32 v22, vcc, s6, v20
	v_lshlrev_b64 v[27:28], 3, v[30:31]
	v_addc_co_u32_e32 v31, vcc, v37, v21, vcc
	v_add_co_u32_e32 v20, vcc, v22, v25
	v_addc_co_u32_e32 v21, vcc, v31, v26, vcc
	v_lshlrev_b64 v[29:30], 3, v[32:33]
	v_add_co_u32_e32 v25, vcc, v22, v27
	v_addc_co_u32_e32 v26, vcc, v31, v28, vcc
	v_add_co_u32_e32 v27, vcc, v22, v29
	v_addc_co_u32_e32 v28, vcc, v31, v30, vcc
	s_waitcnt vmcnt(4)
	v_mul_f32_e32 v29, v17, v9
	v_mul_f32_e32 v9, v16, v9
	s_waitcnt vmcnt(3)
	v_mul_f32_e32 v30, v1, v11
	v_mul_f32_e32 v11, v0, v11
	;; [unrolled: 3-line block ×3, first 2 shown]
	v_fmac_f32_e32 v29, v16, v8
	v_fma_f32 v8, v8, v17, -v9
	s_waitcnt vmcnt(1)
	v_mul_f32_e32 v33, v5, v15
	v_mul_f32_e32 v15, v4, v15
	v_fmac_f32_e32 v30, v0, v10
	v_fma_f32 v9, v10, v1, -v11
	v_fmac_f32_e32 v32, v2, v12
	v_fma_f32 v12, v12, v3, -v13
	v_cvt_f64_f32_e32 v[0:1], v29
	v_cvt_f64_f32_e32 v[2:3], v8
	v_fmac_f32_e32 v33, v4, v14
	v_fma_f32 v16, v14, v5, -v15
	v_cvt_f64_f32_e32 v[4:5], v30
	v_cvt_f64_f32_e32 v[8:9], v9
	;; [unrolled: 1-line block ×5, first 2 shown]
	v_mul_f64 v[0:1], v[0:1], s[4:5]
	v_mul_f64 v[2:3], v[2:3], s[4:5]
	v_mul_f64 v[4:5], v[4:5], s[4:5]
	v_mul_f64 v[8:9], v[8:9], s[4:5]
	v_mul_f64 v[10:11], v[10:11], s[4:5]
	v_mul_f64 v[12:13], v[12:13], s[4:5]
	v_mul_f64 v[14:15], v[14:15], s[4:5]
	v_cvt_f64_f32_e32 v[16:17], v16
	v_cvt_f32_f64_e32 v0, v[0:1]
	v_cvt_f32_f64_e32 v1, v[2:3]
	;; [unrolled: 1-line block ×6, first 2 shown]
	global_store_dwordx2 v[20:21], v[0:1], off
	global_store_dwordx2 v[25:26], v[2:3], off
	v_mad_u64_u32 v[0:1], s[2:3], s0, v24, 0
	v_cvt_f32_f64_e32 v2, v[14:15]
	global_store_dwordx2 v[27:28], v[4:5], off
	v_mul_f64 v[16:17], v[16:17], s[4:5]
	v_mad_u64_u32 v[4:5], s[2:3], s1, v24, v[1:2]
	s_waitcnt vmcnt(3)
	v_mul_f32_e32 v1, v7, v19
	v_fmac_f32_e32 v1, v6, v18
	v_cvt_f64_f32_e32 v[8:9], v1
	v_mul_f32_e32 v1, v6, v19
	v_fma_f32 v1, v18, v7, -v1
	v_cvt_f64_f32_e32 v[5:6], v1
	v_mul_f64 v[7:8], v[8:9], s[4:5]
	v_mad_u64_u32 v[9:10], s[2:3], s0, v23, 0
	v_mov_b32_e32 v1, v4
	v_mul_f64 v[4:5], v[5:6], s[4:5]
	v_mov_b32_e32 v6, v10
	v_cvt_f32_f64_e32 v3, v[16:17]
	v_lshlrev_b64 v[0:1], 3, v[0:1]
	v_mad_u64_u32 v[10:11], s[0:1], s1, v23, v[6:7]
	v_add_co_u32_e32 v0, vcc, v22, v0
	v_addc_co_u32_e32 v1, vcc, v31, v1, vcc
	global_store_dwordx2 v[0:1], v[2:3], off
	v_cvt_f32_f64_e32 v0, v[7:8]
	v_cvt_f32_f64_e32 v1, v[4:5]
	v_lshlrev_b64 v[2:3], 3, v[9:10]
	v_add_co_u32_e32 v2, vcc, v22, v2
	v_addc_co_u32_e32 v3, vcc, v31, v3, vcc
	global_store_dwordx2 v[2:3], v[0:1], off
.LBB0_23:
	s_endpgm
	.section	.rodata,"a",@progbits
	.p2align	6, 0x0
	.amdhsa_kernel bluestein_single_back_len20_dim1_sp_op_CI_CI
		.amdhsa_group_segment_fixed_size 4000
		.amdhsa_private_segment_fixed_size 0
		.amdhsa_kernarg_size 104
		.amdhsa_user_sgpr_count 6
		.amdhsa_user_sgpr_private_segment_buffer 1
		.amdhsa_user_sgpr_dispatch_ptr 0
		.amdhsa_user_sgpr_queue_ptr 0
		.amdhsa_user_sgpr_kernarg_segment_ptr 1
		.amdhsa_user_sgpr_dispatch_id 0
		.amdhsa_user_sgpr_flat_scratch_init 0
		.amdhsa_user_sgpr_private_segment_size 0
		.amdhsa_uses_dynamic_stack 0
		.amdhsa_system_sgpr_private_segment_wavefront_offset 0
		.amdhsa_system_sgpr_workgroup_id_x 1
		.amdhsa_system_sgpr_workgroup_id_y 0
		.amdhsa_system_sgpr_workgroup_id_z 0
		.amdhsa_system_sgpr_workgroup_info 0
		.amdhsa_system_vgpr_workitem_id 0
		.amdhsa_next_free_vgpr 50
		.amdhsa_next_free_sgpr 16
		.amdhsa_reserve_vcc 1
		.amdhsa_reserve_flat_scratch 0
		.amdhsa_float_round_mode_32 0
		.amdhsa_float_round_mode_16_64 0
		.amdhsa_float_denorm_mode_32 3
		.amdhsa_float_denorm_mode_16_64 3
		.amdhsa_dx10_clamp 1
		.amdhsa_ieee_mode 1
		.amdhsa_fp16_overflow 0
		.amdhsa_exception_fp_ieee_invalid_op 0
		.amdhsa_exception_fp_denorm_src 0
		.amdhsa_exception_fp_ieee_div_zero 0
		.amdhsa_exception_fp_ieee_overflow 0
		.amdhsa_exception_fp_ieee_underflow 0
		.amdhsa_exception_fp_ieee_inexact 0
		.amdhsa_exception_int_div_zero 0
	.end_amdhsa_kernel
	.text
.Lfunc_end0:
	.size	bluestein_single_back_len20_dim1_sp_op_CI_CI, .Lfunc_end0-bluestein_single_back_len20_dim1_sp_op_CI_CI
                                        ; -- End function
	.section	.AMDGPU.csdata,"",@progbits
; Kernel info:
; codeLenInByte = 3104
; NumSgprs: 20
; NumVgprs: 50
; ScratchSize: 0
; MemoryBound: 0
; FloatMode: 240
; IeeeMode: 1
; LDSByteSize: 4000 bytes/workgroup (compile time only)
; SGPRBlocks: 2
; VGPRBlocks: 12
; NumSGPRsForWavesPerEU: 20
; NumVGPRsForWavesPerEU: 50
; Occupancy: 4
; WaveLimiterHint : 1
; COMPUTE_PGM_RSRC2:SCRATCH_EN: 0
; COMPUTE_PGM_RSRC2:USER_SGPR: 6
; COMPUTE_PGM_RSRC2:TRAP_HANDLER: 0
; COMPUTE_PGM_RSRC2:TGID_X_EN: 1
; COMPUTE_PGM_RSRC2:TGID_Y_EN: 0
; COMPUTE_PGM_RSRC2:TGID_Z_EN: 0
; COMPUTE_PGM_RSRC2:TIDIG_COMP_CNT: 0
	.type	__hip_cuid_9b732e7084c4374e,@object ; @__hip_cuid_9b732e7084c4374e
	.section	.bss,"aw",@nobits
	.globl	__hip_cuid_9b732e7084c4374e
__hip_cuid_9b732e7084c4374e:
	.byte	0                               ; 0x0
	.size	__hip_cuid_9b732e7084c4374e, 1

	.ident	"AMD clang version 19.0.0git (https://github.com/RadeonOpenCompute/llvm-project roc-6.4.0 25133 c7fe45cf4b819c5991fe208aaa96edf142730f1d)"
	.section	".note.GNU-stack","",@progbits
	.addrsig
	.addrsig_sym __hip_cuid_9b732e7084c4374e
	.amdgpu_metadata
---
amdhsa.kernels:
  - .args:
      - .actual_access:  read_only
        .address_space:  global
        .offset:         0
        .size:           8
        .value_kind:     global_buffer
      - .actual_access:  read_only
        .address_space:  global
        .offset:         8
        .size:           8
        .value_kind:     global_buffer
      - .actual_access:  read_only
        .address_space:  global
        .offset:         16
        .size:           8
        .value_kind:     global_buffer
      - .actual_access:  read_only
        .address_space:  global
        .offset:         24
        .size:           8
        .value_kind:     global_buffer
      - .actual_access:  read_only
        .address_space:  global
        .offset:         32
        .size:           8
        .value_kind:     global_buffer
      - .offset:         40
        .size:           8
        .value_kind:     by_value
      - .address_space:  global
        .offset:         48
        .size:           8
        .value_kind:     global_buffer
      - .address_space:  global
        .offset:         56
        .size:           8
        .value_kind:     global_buffer
      - .address_space:  global
        .offset:         64
        .size:           8
        .value_kind:     global_buffer
      - .address_space:  global
        .offset:         72
        .size:           8
        .value_kind:     global_buffer
      - .offset:         80
        .size:           4
        .value_kind:     by_value
      - .address_space:  global
        .offset:         88
        .size:           8
        .value_kind:     global_buffer
      - .address_space:  global
        .offset:         96
        .size:           8
        .value_kind:     global_buffer
    .group_segment_fixed_size: 4000
    .kernarg_segment_align: 8
    .kernarg_segment_size: 104
    .language:       OpenCL C
    .language_version:
      - 2
      - 0
    .max_flat_workgroup_size: 250
    .name:           bluestein_single_back_len20_dim1_sp_op_CI_CI
    .private_segment_fixed_size: 0
    .sgpr_count:     20
    .sgpr_spill_count: 0
    .symbol:         bluestein_single_back_len20_dim1_sp_op_CI_CI.kd
    .uniform_work_group_size: 1
    .uses_dynamic_stack: false
    .vgpr_count:     50
    .vgpr_spill_count: 0
    .wavefront_size: 64
amdhsa.target:   amdgcn-amd-amdhsa--gfx906
amdhsa.version:
  - 1
  - 2
...

	.end_amdgpu_metadata
